;; amdgpu-corpus repo=ROCm/rocFFT kind=compiled arch=gfx950 opt=O3
	.text
	.amdgcn_target "amdgcn-amd-amdhsa--gfx950"
	.amdhsa_code_object_version 6
	.protected	fft_rtc_fwd_len64_factors_8_2_2_2_wgs_64_tpt_4_dim2_dp_op_CI_CI_sbcc_twdbase8_3step_dirReg ; -- Begin function fft_rtc_fwd_len64_factors_8_2_2_2_wgs_64_tpt_4_dim2_dp_op_CI_CI_sbcc_twdbase8_3step_dirReg
	.globl	fft_rtc_fwd_len64_factors_8_2_2_2_wgs_64_tpt_4_dim2_dp_op_CI_CI_sbcc_twdbase8_3step_dirReg
	.p2align	8
	.type	fft_rtc_fwd_len64_factors_8_2_2_2_wgs_64_tpt_4_dim2_dp_op_CI_CI_sbcc_twdbase8_3step_dirReg,@function
fft_rtc_fwd_len64_factors_8_2_2_2_wgs_64_tpt_4_dim2_dp_op_CI_CI_sbcc_twdbase8_3step_dirReg: ; @fft_rtc_fwd_len64_factors_8_2_2_2_wgs_64_tpt_4_dim2_dp_op_CI_CI_sbcc_twdbase8_3step_dirReg
; %bb.0:
	s_load_dwordx4 s[4:7], s[0:1], 0x10
	s_load_dwordx2 s[28:29], s[0:1], 0x20
	s_mov_b32 s3, 0
	s_mov_b64 s[26:27], -1
	s_mov_b64 s[14:15], 0
	s_waitcnt lgkmcnt(0)
	s_load_dwordx2 s[20:21], s[4:5], 0x8
	s_load_dwordx2 s[24:25], s[0:1], 0x58
	;; [unrolled: 1-line block ×3, first 2 shown]
	s_waitcnt lgkmcnt(0)
	s_add_u32 s4, s20, -1
	s_addc_u32 s5, s21, -1
	s_lshr_b64 s[4:5], s[4:5], 4
	s_add_u32 s4, s4, 1
	s_addc_u32 s5, s5, 0
	v_mov_b64_e32 v[2:3], s[4:5]
	v_cmp_lt_u64_e32 vcc, s[2:3], v[2:3]
	s_cbranch_vccnz .LBB0_2
; %bb.1:
	v_cvt_f32_u32_e32 v1, s4
	s_sub_i32 s3, 0, s4
	v_rcp_iflag_f32_e32 v1, v1
	s_nop 0
	v_mul_f32_e32 v1, 0x4f7ffffe, v1
	v_cvt_u32_f32_e32 v1, v1
	s_nop 0
	v_readfirstlane_b32 s8, v1
	s_mul_i32 s3, s3, s8
	s_mul_hi_u32 s3, s8, s3
	s_add_i32 s8, s8, s3
	s_mul_hi_u32 s3, s2, s8
	s_mul_i32 s9, s3, s4
	s_sub_i32 s9, s2, s9
	s_add_i32 s8, s3, 1
	s_sub_i32 s10, s9, s4
	s_cmp_ge_u32 s9, s4
	s_cselect_b32 s3, s8, s3
	s_cselect_b32 s9, s10, s9
	s_add_i32 s8, s3, 1
	s_cmp_ge_u32 s9, s4
	s_cselect_b32 s14, s8, s3
.LBB0_2:
	s_mul_i32 s3, s14, s5
	s_mul_hi_u32 s5, s14, s4
	s_load_dwordx4 s[8:11], s[6:7], 0x8
	s_add_i32 s5, s5, s3
	s_mul_i32 s3, s14, s4
	s_sub_u32 s2, s2, s3
	s_subb_u32 s3, 0, s5
	v_mov_b32_e32 v1, s2
	s_lshl_b64 s[16:17], s[2:3], 4
	v_alignbit_b32 v1, s3, v1, 28
	s_waitcnt lgkmcnt(0)
	s_mul_i32 s3, s16, s9
	v_readfirstlane_b32 s2, v1
	s_mul_hi_u32 s4, s16, s8
	s_mul_i32 s2, s2, s8
	s_add_i32 s3, s4, s3
	s_mul_i32 s11, s11, s14
	s_mul_hi_u32 s15, s10, s14
	s_add_i32 s3, s3, s2
	s_mul_i32 s2, s16, s8
	s_add_i32 s15, s15, s11
	s_mul_i32 s10, s10, s14
	s_add_u32 s10, s10, s2
	s_load_dwordx2 s[18:19], s[0:1], 0x0
	s_load_dwordx2 s[12:13], s[28:29], 0x0
	s_load_dwordx4 s[4:7], s[28:29], 0x8
	s_addc_u32 s11, s15, s3
	s_add_u32 s28, s16, 16
	s_addc_u32 s29, s17, 0
	v_mov_b64_e32 v[2:3], s[20:21]
	v_and_b32_e32 v68, 15, v0
	v_cmp_gt_u64_e32 vcc, s[28:29], v[2:3]
	v_or_b32_e32 v66, s16, v68
	v_mov_b32_e32 v67, s17
	v_cmp_le_u64_e64 s[2:3], s[28:29], v[2:3]
	v_lshrrev_b32_e32 v69, 4, v0
	s_cbranch_vccz .LBB0_8
; %bb.3:
	v_cmp_le_u64_e32 vcc, s[20:21], v[66:67]
                                        ; implicit-def: $vgpr72
                                        ; implicit-def: $vgpr70
                                        ; implicit-def: $vgpr75
                                        ; implicit-def: $vgpr71
                                        ; implicit-def: $vgpr76
                                        ; implicit-def: $vgpr74
                                        ; implicit-def: $vgpr1
	s_and_saveexec_b64 s[26:27], vcc
	s_xor_b64 s[26:27], exec, s[26:27]
; %bb.4:
	v_or_b32_e32 v72, 4, v69
	v_or_b32_e32 v70, 8, v69
	;; [unrolled: 1-line block ×7, first 2 shown]
; %bb.5:
	s_or_saveexec_b64 s[26:27], s[26:27]
                                        ; implicit-def: $vgpr2_vgpr3
                                        ; implicit-def: $vgpr10_vgpr11
                                        ; implicit-def: $vgpr26_vgpr27
                                        ; implicit-def: $vgpr42_vgpr43
                                        ; implicit-def: $vgpr14_vgpr15
                                        ; implicit-def: $vgpr30_vgpr31
                                        ; implicit-def: $vgpr46_vgpr47
                                        ; implicit-def: $vgpr58_vgpr59
                                        ; implicit-def: $vgpr62_vgpr63
                                        ; implicit-def: $vgpr54_vgpr55
                                        ; implicit-def: $vgpr34_vgpr35
                                        ; implicit-def: $vgpr18_vgpr19
                                        ; implicit-def: $vgpr50_vgpr51
                                        ; implicit-def: $vgpr38_vgpr39
                                        ; implicit-def: $vgpr22_vgpr23
                                        ; implicit-def: $vgpr6_vgpr7
	s_xor_b64 exec, exec, s[26:27]
	s_cbranch_execz .LBB0_7
; %bb.6:
	v_mad_u64_u32 v[2:3], s[28:29], s8, v68, 0
	v_mov_b32_e32 v4, v3
	v_mad_u64_u32 v[4:5], s[28:29], s9, v68, v[4:5]
	v_mov_b32_e32 v3, v4
	;; [unrolled: 2-line block ×3, first 2 shown]
	v_mad_u64_u32 v[6:7], s[28:29], s23, v69, v[6:7]
	s_lshl_b64 s[28:29], s[10:11], 4
	s_add_u32 s28, s24, s28
	s_addc_u32 s29, s25, s29
	v_or_b32_e32 v70, 8, v69
	v_mov_b32_e32 v5, v6
	v_lshl_add_u64 v[58:59], v[2:3], 4, s[28:29]
	v_mad_u64_u32 v[2:3], s[28:29], s22, v70, 0
	v_lshl_add_u64 v[10:11], v[4:5], 4, v[58:59]
	v_mov_b32_e32 v4, v3
	v_mad_u64_u32 v[4:5], s[28:29], s23, v70, v[4:5]
	v_mov_b32_e32 v3, v4
	v_or_b32_e32 v71, 16, v69
	v_lshl_add_u64 v[12:13], v[2:3], 4, v[58:59]
	global_load_dwordx4 v[2:5], v[10:11], off
	global_load_dwordx4 v[6:9], v[12:13], off
	v_mad_u64_u32 v[10:11], s[28:29], s22, v71, 0
	v_mov_b32_e32 v12, v11
	v_mad_u64_u32 v[12:13], s[28:29], s23, v71, v[12:13]
	v_mov_b32_e32 v11, v12
	v_or_b32_e32 v74, 24, v69
	v_lshl_add_u64 v[14:15], v[10:11], 4, v[58:59]
	v_mad_u64_u32 v[10:11], s[28:29], s22, v74, 0
	v_mov_b32_e32 v12, v11
	v_mad_u64_u32 v[12:13], s[28:29], s23, v74, v[12:13]
	v_mov_b32_e32 v11, v12
	v_or_b32_e32 v1, 32, v69
	v_lshl_add_u64 v[16:17], v[10:11], 4, v[58:59]
	global_load_dwordx4 v[10:13], v[14:15], off
	global_load_dwordx4 v[22:25], v[16:17], off
	v_mad_u64_u32 v[14:15], s[28:29], s22, v1, 0
	v_mov_b32_e32 v16, v15
	v_mad_u64_u32 v[16:17], s[28:29], s23, v1, v[16:17]
	v_or_b32_e32 v1, 40, v69
	v_mov_b32_e32 v15, v16
	v_mad_u64_u32 v[16:17], s[28:29], s22, v1, 0
	v_mov_b32_e32 v18, v17
	v_mad_u64_u32 v[18:19], s[28:29], s23, v1, v[18:19]
	v_lshl_add_u64 v[14:15], v[14:15], 4, v[58:59]
	v_mov_b32_e32 v17, v18
	v_or_b32_e32 v1, 48, v69
	v_lshl_add_u64 v[16:17], v[16:17], 4, v[58:59]
	global_load_dwordx4 v[38:41], v[14:15], off
	global_load_dwordx4 v[26:29], v[16:17], off
	v_mad_u64_u32 v[14:15], s[28:29], s22, v1, 0
	v_mov_b32_e32 v16, v15
	v_mad_u64_u32 v[16:17], s[28:29], s23, v1, v[16:17]
	v_or_b32_e32 v1, 56, v69
	v_mov_b32_e32 v15, v16
	v_mad_u64_u32 v[16:17], s[28:29], s22, v1, 0
	v_mov_b32_e32 v18, v17
	v_mad_u64_u32 v[18:19], s[28:29], s23, v1, v[18:19]
	v_lshl_add_u64 v[14:15], v[14:15], 4, v[58:59]
	v_mov_b32_e32 v17, v18
	v_or_b32_e32 v72, 4, v69
	v_lshl_add_u64 v[16:17], v[16:17], 4, v[58:59]
	global_load_dwordx4 v[50:53], v[14:15], off
	global_load_dwordx4 v[42:45], v[16:17], off
	v_mad_u64_u32 v[14:15], s[28:29], s22, v72, 0
	v_mov_b32_e32 v16, v15
	v_mad_u64_u32 v[16:17], s[28:29], s23, v72, v[16:17]
	v_mov_b32_e32 v15, v16
	v_or_b32_e32 v75, 12, v69
	v_lshl_add_u64 v[30:31], v[14:15], 4, v[58:59]
	v_mad_u64_u32 v[14:15], s[28:29], s22, v75, 0
	v_mov_b32_e32 v16, v15
	v_mad_u64_u32 v[16:17], s[28:29], s23, v75, v[16:17]
	v_mov_b32_e32 v15, v16
	v_or_b32_e32 v76, 20, v69
	v_lshl_add_u64 v[32:33], v[14:15], 4, v[58:59]
	global_load_dwordx4 v[14:17], v[30:31], off
	global_load_dwordx4 v[18:21], v[32:33], off
	v_mad_u64_u32 v[30:31], s[28:29], s22, v76, 0
	v_mov_b32_e32 v32, v31
	v_mad_u64_u32 v[32:33], s[28:29], s23, v76, v[32:33]
	v_mov_b32_e32 v31, v32
	v_or_b32_e32 v1, 28, v69
	v_lshl_add_u64 v[46:47], v[30:31], 4, v[58:59]
	v_mad_u64_u32 v[30:31], s[28:29], s22, v1, 0
	v_mov_b32_e32 v32, v31
	v_mad_u64_u32 v[32:33], s[28:29], s23, v1, v[32:33]
	v_mov_b32_e32 v31, v32
	v_lshl_add_u64 v[48:49], v[30:31], 4, v[58:59]
	global_load_dwordx4 v[30:33], v[46:47], off
	global_load_dwordx4 v[34:37], v[48:49], off
	v_or_b32_e32 v49, 36, v69
	v_mad_u64_u32 v[46:47], s[28:29], s22, v49, 0
	v_mov_b32_e32 v48, v47
	v_mad_u64_u32 v[48:49], s[28:29], s23, v49, v[48:49]
	v_mov_b32_e32 v47, v48
	v_or_b32_e32 v49, 44, v69
	v_lshl_add_u64 v[60:61], v[46:47], 4, v[58:59]
	v_mad_u64_u32 v[46:47], s[28:29], s22, v49, 0
	v_mov_b32_e32 v48, v47
	v_mad_u64_u32 v[48:49], s[28:29], s23, v49, v[48:49]
	v_mov_b32_e32 v47, v48
	v_lshl_add_u64 v[62:63], v[46:47], 4, v[58:59]
	global_load_dwordx4 v[54:57], v[60:61], off
	global_load_dwordx4 v[46:49], v[62:63], off
	v_or_b32_e32 v63, 52, v69
	v_mad_u64_u32 v[60:61], s[28:29], s22, v63, 0
	v_mov_b32_e32 v62, v61
	v_mad_u64_u32 v[62:63], s[28:29], s23, v63, v[62:63]
	v_mov_b32_e32 v61, v62
	v_or_b32_e32 v63, 60, v69
	v_lshl_add_u64 v[78:79], v[60:61], 4, v[58:59]
	v_mad_u64_u32 v[60:61], s[28:29], s22, v63, 0
	v_mov_b32_e32 v62, v61
	v_mad_u64_u32 v[62:63], s[28:29], s23, v63, v[62:63]
	v_mov_b32_e32 v61, v62
	v_lshl_add_u64 v[80:81], v[60:61], 4, v[58:59]
	global_load_dwordx4 v[62:65], v[78:79], off
	global_load_dwordx4 v[58:61], v[80:81], off
.LBB0_7:
	s_or_b64 exec, exec, s[26:27]
	v_or_b32_e32 v73, 32, v69
	s_cbranch_execz .LBB0_9
	s_branch .LBB0_10
.LBB0_8:
                                        ; implicit-def: $vgpr2_vgpr3
                                        ; implicit-def: $vgpr10_vgpr11
                                        ; implicit-def: $vgpr26_vgpr27
                                        ; implicit-def: $vgpr42_vgpr43
                                        ; implicit-def: $vgpr14_vgpr15
                                        ; implicit-def: $vgpr30_vgpr31
                                        ; implicit-def: $vgpr46_vgpr47
                                        ; implicit-def: $vgpr58_vgpr59
                                        ; implicit-def: $vgpr62_vgpr63
                                        ; implicit-def: $vgpr54_vgpr55
                                        ; implicit-def: $vgpr34_vgpr35
                                        ; implicit-def: $vgpr18_vgpr19
                                        ; implicit-def: $vgpr50_vgpr51
                                        ; implicit-def: $vgpr72
                                        ; implicit-def: $vgpr70
                                        ; implicit-def: $vgpr75
                                        ; implicit-def: $vgpr71
                                        ; implicit-def: $vgpr76
                                        ; implicit-def: $vgpr74
                                        ; implicit-def: $vgpr1
                                        ; implicit-def: $vgpr38_vgpr39
                                        ; implicit-def: $vgpr22_vgpr23
                                        ; implicit-def: $vgpr6_vgpr7
	s_andn2_b64 vcc, exec, s[26:27]
	v_or_b32_e32 v73, 32, v69
	s_cbranch_vccnz .LBB0_10
.LBB0_9:
	s_waitcnt vmcnt(15)
	v_mad_u64_u32 v[2:3], s[26:27], s8, v68, 0
	v_mov_b32_e32 v4, v3
	v_mad_u64_u32 v[4:5], s[8:9], s9, v68, v[4:5]
	v_mov_b32_e32 v3, v4
	v_mad_u64_u32 v[4:5], s[8:9], s22, v69, 0
	s_waitcnt vmcnt(14)
	v_mov_b32_e32 v6, v5
	v_mad_u64_u32 v[6:7], s[8:9], s23, v69, v[6:7]
	s_lshl_b64 s[8:9], s[10:11], 4
	s_add_u32 s8, s24, s8
	s_addc_u32 s9, s25, s9
	v_or_b32_e32 v70, 8, v69
	v_mov_b32_e32 v5, v6
	s_waitcnt vmcnt(0)
	v_lshl_add_u64 v[58:59], v[2:3], 4, s[8:9]
	v_mad_u64_u32 v[2:3], s[8:9], s22, v70, 0
	v_lshl_add_u64 v[10:11], v[4:5], 4, v[58:59]
	v_mov_b32_e32 v4, v3
	v_mad_u64_u32 v[4:5], s[8:9], s23, v70, v[4:5]
	v_mov_b32_e32 v3, v4
	v_or_b32_e32 v71, 16, v69
	v_lshl_add_u64 v[12:13], v[2:3], 4, v[58:59]
	global_load_dwordx4 v[2:5], v[10:11], off
	global_load_dwordx4 v[6:9], v[12:13], off
	v_mad_u64_u32 v[10:11], s[8:9], s22, v71, 0
	v_mov_b32_e32 v12, v11
	v_mad_u64_u32 v[12:13], s[8:9], s23, v71, v[12:13]
	v_mov_b32_e32 v11, v12
	v_or_b32_e32 v74, 24, v69
	v_lshl_add_u64 v[14:15], v[10:11], 4, v[58:59]
	v_mad_u64_u32 v[10:11], s[8:9], s22, v74, 0
	v_mov_b32_e32 v12, v11
	v_mad_u64_u32 v[12:13], s[8:9], s23, v74, v[12:13]
	v_mov_b32_e32 v11, v12
	v_lshl_add_u64 v[16:17], v[10:11], 4, v[58:59]
	global_load_dwordx4 v[10:13], v[14:15], off
	global_load_dwordx4 v[22:25], v[16:17], off
	v_mad_u64_u32 v[14:15], s[8:9], s22, v73, 0
	v_mov_b32_e32 v16, v15
	v_mad_u64_u32 v[16:17], s[8:9], s23, v73, v[16:17]
	v_or_b32_e32 v1, 40, v69
	v_mov_b32_e32 v15, v16
	v_mad_u64_u32 v[16:17], s[8:9], s22, v1, 0
	v_mov_b32_e32 v18, v17
	v_mad_u64_u32 v[18:19], s[8:9], s23, v1, v[18:19]
	v_lshl_add_u64 v[14:15], v[14:15], 4, v[58:59]
	v_mov_b32_e32 v17, v18
	v_or_b32_e32 v1, 48, v69
	v_lshl_add_u64 v[16:17], v[16:17], 4, v[58:59]
	global_load_dwordx4 v[38:41], v[14:15], off
	global_load_dwordx4 v[26:29], v[16:17], off
	v_mad_u64_u32 v[14:15], s[8:9], s22, v1, 0
	v_mov_b32_e32 v16, v15
	v_mad_u64_u32 v[16:17], s[8:9], s23, v1, v[16:17]
	v_or_b32_e32 v1, 56, v69
	v_mov_b32_e32 v15, v16
	v_mad_u64_u32 v[16:17], s[8:9], s22, v1, 0
	v_mov_b32_e32 v18, v17
	v_mad_u64_u32 v[18:19], s[8:9], s23, v1, v[18:19]
	v_lshl_add_u64 v[14:15], v[14:15], 4, v[58:59]
	v_mov_b32_e32 v17, v18
	v_or_b32_e32 v72, 4, v69
	v_lshl_add_u64 v[16:17], v[16:17], 4, v[58:59]
	global_load_dwordx4 v[50:53], v[14:15], off
	global_load_dwordx4 v[42:45], v[16:17], off
	v_mad_u64_u32 v[14:15], s[8:9], s22, v72, 0
	v_mov_b32_e32 v16, v15
	v_mad_u64_u32 v[16:17], s[8:9], s23, v72, v[16:17]
	v_mov_b32_e32 v15, v16
	v_or_b32_e32 v75, 12, v69
	v_lshl_add_u64 v[30:31], v[14:15], 4, v[58:59]
	v_mad_u64_u32 v[14:15], s[8:9], s22, v75, 0
	v_mov_b32_e32 v16, v15
	v_mad_u64_u32 v[16:17], s[8:9], s23, v75, v[16:17]
	v_mov_b32_e32 v15, v16
	v_or_b32_e32 v76, 20, v69
	v_lshl_add_u64 v[32:33], v[14:15], 4, v[58:59]
	global_load_dwordx4 v[14:17], v[30:31], off
	global_load_dwordx4 v[18:21], v[32:33], off
	v_mad_u64_u32 v[30:31], s[8:9], s22, v76, 0
	v_mov_b32_e32 v32, v31
	v_mad_u64_u32 v[32:33], s[8:9], s23, v76, v[32:33]
	v_mov_b32_e32 v31, v32
	v_or_b32_e32 v1, 28, v69
	v_lshl_add_u64 v[46:47], v[30:31], 4, v[58:59]
	v_mad_u64_u32 v[30:31], s[8:9], s22, v1, 0
	v_mov_b32_e32 v32, v31
	v_mad_u64_u32 v[32:33], s[8:9], s23, v1, v[32:33]
	v_mov_b32_e32 v31, v32
	v_lshl_add_u64 v[48:49], v[30:31], 4, v[58:59]
	global_load_dwordx4 v[30:33], v[46:47], off
	global_load_dwordx4 v[34:37], v[48:49], off
	v_or_b32_e32 v49, 36, v69
	v_mad_u64_u32 v[46:47], s[8:9], s22, v49, 0
	v_mov_b32_e32 v48, v47
	v_mad_u64_u32 v[48:49], s[8:9], s23, v49, v[48:49]
	v_mov_b32_e32 v47, v48
	v_or_b32_e32 v49, 44, v69
	v_lshl_add_u64 v[60:61], v[46:47], 4, v[58:59]
	v_mad_u64_u32 v[46:47], s[8:9], s22, v49, 0
	v_mov_b32_e32 v48, v47
	v_mad_u64_u32 v[48:49], s[8:9], s23, v49, v[48:49]
	v_mov_b32_e32 v47, v48
	v_lshl_add_u64 v[62:63], v[46:47], 4, v[58:59]
	global_load_dwordx4 v[54:57], v[60:61], off
	global_load_dwordx4 v[46:49], v[62:63], off
	v_or_b32_e32 v63, 52, v69
	v_mad_u64_u32 v[60:61], s[8:9], s22, v63, 0
	v_mov_b32_e32 v62, v61
	v_mad_u64_u32 v[62:63], s[8:9], s23, v63, v[62:63]
	v_mov_b32_e32 v61, v62
	v_or_b32_e32 v63, 60, v69
	v_lshl_add_u64 v[78:79], v[60:61], 4, v[58:59]
	v_mad_u64_u32 v[60:61], s[8:9], s22, v63, 0
	v_mov_b32_e32 v62, v61
	v_mad_u64_u32 v[62:63], s[8:9], s23, v63, v[62:63]
	v_mov_b32_e32 v61, v62
	v_lshl_add_u64 v[80:81], v[60:61], 4, v[58:59]
	global_load_dwordx4 v[62:65], v[78:79], off
	global_load_dwordx4 v[58:61], v[80:81], off
.LBB0_10:
	s_waitcnt vmcnt(11)
	v_add_f64 v[38:39], v[2:3], -v[38:39]
	v_add_f64 v[40:41], v[4:5], -v[40:41]
	s_waitcnt vmcnt(9)
	v_add_f64 v[50:51], v[10:11], -v[50:51]
	v_add_f64 v[52:53], v[12:13], -v[52:53]
	v_add_f64 v[26:27], v[6:7], -v[26:27]
	v_add_f64 v[28:29], v[8:9], -v[28:29]
	s_waitcnt vmcnt(8)
	v_add_f64 v[42:43], v[22:23], -v[42:43]
	v_add_f64 v[44:45], v[24:25], -v[44:45]
	v_fma_f64 v[2:3], v[2:3], 2.0, -v[38:39]
	v_fma_f64 v[4:5], v[4:5], 2.0, -v[40:41]
	v_fma_f64 v[10:11], v[10:11], 2.0, -v[50:51]
	v_fma_f64 v[12:13], v[12:13], 2.0, -v[52:53]
	v_fma_f64 v[6:7], v[6:7], 2.0, -v[26:27]
	v_fma_f64 v[8:9], v[8:9], 2.0, -v[28:29]
	v_fma_f64 v[22:23], v[22:23], 2.0, -v[42:43]
	v_fma_f64 v[24:25], v[24:25], 2.0, -v[44:45]
	v_add_f64 v[78:79], v[2:3], -v[10:11]
	v_add_f64 v[80:81], v[4:5], -v[12:13]
	;; [unrolled: 1-line block ×4, first 2 shown]
	v_fma_f64 v[10:11], v[2:3], 2.0, -v[78:79]
	v_fma_f64 v[12:13], v[4:5], 2.0, -v[80:81]
	;; [unrolled: 1-line block ×4, first 2 shown]
	v_lshlrev_b32_e32 v6, 11, v69
	v_lshlrev_b32_e32 v8, 4, v68
	s_mov_b32 s8, 0x667f3bcd
	v_add3_u32 v9, 0, v6, v8
	v_add_f64 v[6:7], v[38:39], -v[52:53]
	v_add_f64 v[52:53], v[50:51], v[40:41]
	v_add_f64 v[50:51], v[26:27], -v[44:45]
	s_mov_b32 s9, 0xbfe6a09e
	s_mov_b32 s11, 0x3fe6a09e
	;; [unrolled: 1-line block ×3, first 2 shown]
	v_add_f64 v[2:3], v[10:11], -v[2:3]
	v_add_f64 v[4:5], v[12:13], -v[4:5]
	v_add_f64 v[86:87], v[42:43], v[28:29]
	v_fma_f64 v[42:43], s[10:11], v[50:51], v[6:7]
	v_fma_f64 v[10:11], v[10:11], 2.0, -v[2:3]
	v_fma_f64 v[12:13], v[12:13], 2.0, -v[4:5]
	;; [unrolled: 1-line block ×6, first 2 shown]
	v_fma_f64 v[44:45], s[10:11], v[86:87], v[52:53]
	v_fmac_f64_e32 v[42:43], s[8:9], v[86:87]
	ds_write_b128 v9, v[10:13]
	v_fma_f64 v[10:11], s[8:9], v[26:27], v[22:23]
	v_fma_f64 v[12:13], s[8:9], v[28:29], v[24:25]
	v_fmac_f64_e32 v[44:45], s[10:11], v[50:51]
	v_fma_f64 v[50:51], v[6:7], 2.0, -v[42:43]
	s_waitcnt vmcnt(3)
	v_add_f64 v[6:7], v[14:15], -v[54:55]
	v_add_f64 v[54:55], v[16:17], -v[56:57]
	s_waitcnt vmcnt(1)
	v_add_f64 v[56:57], v[30:31], -v[62:63]
	v_add_f64 v[62:63], v[32:33], -v[64:65]
	;; [unrolled: 1-line block ×4, first 2 shown]
	s_waitcnt vmcnt(0)
	v_add_f64 v[58:59], v[34:35], -v[58:59]
	v_add_f64 v[60:61], v[36:37], -v[60:61]
	v_fmac_f64_e32 v[10:11], s[8:9], v[28:29]
	v_fmac_f64_e32 v[12:13], s[10:11], v[26:27]
	v_add_f64 v[26:27], v[78:79], -v[84:85]
	v_add_f64 v[28:29], v[82:83], v[80:81]
	v_fma_f64 v[14:15], v[14:15], 2.0, -v[6:7]
	v_fma_f64 v[16:17], v[16:17], 2.0, -v[54:55]
	;; [unrolled: 1-line block ×10, first 2 shown]
	v_add_f64 v[64:65], v[14:15], -v[30:31]
	v_add_f64 v[78:79], v[16:17], -v[32:33]
	v_add_f64 v[80:81], v[56:57], v[54:55]
	v_add_f64 v[56:57], v[18:19], -v[34:35]
	v_add_f64 v[82:83], v[20:21], -v[36:37]
	v_fma_f64 v[30:31], v[14:15], 2.0, -v[64:65]
	v_fma_f64 v[32:33], v[16:17], 2.0, -v[78:79]
	v_add_f64 v[62:63], v[6:7], -v[62:63]
	v_fma_f64 v[14:15], v[18:19], 2.0, -v[56:57]
	v_fma_f64 v[16:17], v[20:21], 2.0, -v[82:83]
	v_add_f64 v[84:85], v[46:47], -v[60:61]
	v_add_f64 v[86:87], v[58:59], v[48:49]
	v_fma_f64 v[22:23], v[22:23], 2.0, -v[10:11]
	v_fma_f64 v[24:25], v[24:25], 2.0, -v[12:13]
	;; [unrolled: 1-line block ×6, first 2 shown]
	v_add_f64 v[14:15], v[30:31], -v[14:15]
	v_add_f64 v[16:17], v[32:33], -v[16:17]
	v_fma_f64 v[52:53], v[52:53], 2.0, -v[44:45]
	v_fma_f64 v[18:19], v[30:31], 2.0, -v[14:15]
	;; [unrolled: 1-line block ×3, first 2 shown]
	v_fma_f64 v[30:31], s[8:9], v[34:35], v[6:7]
	v_fma_f64 v[32:33], s[8:9], v[36:37], v[54:55]
	;; [unrolled: 1-line block ×4, first 2 shown]
	ds_write_b128 v9, v[22:25] offset:256
	ds_write_b128 v9, v[38:41] offset:512
	;; [unrolled: 1-line block ×7, first 2 shown]
	v_lshlrev_b32_e32 v2, 11, v72
	v_and_b32_e32 v45, 7, v72
	v_fmac_f64_e32 v[30:31], s[8:9], v[36:37]
	v_fmac_f64_e32 v[32:33], s[10:11], v[34:35]
	v_add_f64 v[46:47], v[64:65], -v[82:83]
	v_add_f64 v[48:49], v[56:57], v[78:79]
	v_fmac_f64_e32 v[58:59], s[8:9], v[86:87]
	v_fmac_f64_e32 v[60:61], s[10:11], v[84:85]
	v_add3_u32 v2, 0, v2, v8
	v_lshlrev_b32_e32 v3, 4, v45
	v_fma_f64 v[34:35], v[6:7], 2.0, -v[30:31]
	v_fma_f64 v[36:37], v[54:55], 2.0, -v[32:33]
	;; [unrolled: 1-line block ×6, first 2 shown]
	ds_write_b128 v2, v[18:21]
	ds_write_b128 v2, v[34:37] offset:256
	ds_write_b128 v2, v[54:57] offset:512
	;; [unrolled: 1-line block ×7, first 2 shown]
	s_waitcnt lgkmcnt(0)
	; wave barrier
	s_waitcnt lgkmcnt(0)
	global_load_dwordx4 v[10:13], v3, s[18:19]
	v_and_b32_e32 v99, 7, v1
	v_and_b32_e32 v77, 7, v75
	;; [unrolled: 1-line block ×3, first 2 shown]
	v_lshlrev_b32_e32 v0, 4, v99
	global_load_dwordx4 v[26:29], v0, s[18:19]
	v_lshlrev_b32_e32 v3, 4, v77
	v_and_b32_e32 v98, 7, v76
	global_load_dwordx4 v[14:17], v3, s[18:19]
	global_load_dwordx4 v[22:25], v4, s[18:19]
	v_lshlrev_b32_e32 v3, 4, v98
	global_load_dwordx4 v[18:21], v3, s[18:19]
	s_movk_i32 s8, 0xf900
	v_mad_i32_i24 v44, v69, s8, v9
	ds_read_b128 v[30:33], v44
	ds_read_b128 v[34:37], v44 offset:8192
	ds_read_b128 v[46:49], v44 offset:9216
	;; [unrolled: 1-line block ×3, first 2 shown]
	v_mad_i32_i24 v5, v72, s8, v2
	ds_read_b128 v[54:57], v44 offset:11264
	ds_read_b128 v[58:61], v44 offset:12288
	v_lshlrev_b32_e32 v0, 8, v70
	v_add3_u32 v40, 0, v0, v8
	v_lshlrev_b32_e32 v0, 8, v75
	v_add3_u32 v41, 0, v0, v8
	v_lshlrev_b32_e32 v0, 8, v71
	s_movk_i32 s8, 0xf0
	v_and_b32_e32 v9, 15, v72
	v_and_b32_e32 v102, 15, v74
	;; [unrolled: 1-line block ×3, first 2 shown]
	v_cmp_gt_u64_e32 vcc, s[20:21], v[66:67]
	s_or_b64 s[2:3], s[2:3], vcc
	s_waitcnt vmcnt(4) lgkmcnt(3)
	v_mul_f64 v[2:3], v[48:49], v[12:13]
	v_mul_f64 v[38:39], v[46:47], v[12:13]
	v_fma_f64 v[2:3], v[46:47], v[10:11], -v[2:3]
	v_fmac_f64_e32 v[38:39], v[48:49], v[10:11]
	ds_read_b128 v[10:13], v44 offset:13312
	ds_read_b128 v[46:49], v44 offset:14336
	s_waitcnt vmcnt(2) lgkmcnt(3)
	v_mul_f64 v[6:7], v[56:57], v[16:17]
	v_fma_f64 v[42:43], v[54:55], v[14:15], -v[6:7]
	v_mul_f64 v[82:83], v[54:55], v[16:17]
	s_waitcnt vmcnt(0) lgkmcnt(1)
	v_mul_f64 v[6:7], v[12:13], v[20:21]
	v_mul_f64 v[84:85], v[10:11], v[20:21]
	v_fmac_f64_e32 v[82:83], v[56:57], v[14:15]
	v_fma_f64 v[14:15], v[10:11], v[18:19], -v[6:7]
	v_fmac_f64_e32 v[84:85], v[12:13], v[18:19]
	ds_read_b128 v[18:21], v5
	ds_read_b128 v[10:13], v44 offset:15360
	v_mul_f64 v[6:7], v[36:37], v[24:25]
	v_fma_f64 v[54:55], v[34:35], v[22:23], -v[6:7]
	v_mul_f64 v[6:7], v[52:53], v[24:25]
	v_fma_f64 v[86:87], v[50:51], v[22:23], -v[6:7]
	;; [unrolled: 2-line block ×3, first 2 shown]
	s_waitcnt lgkmcnt(2)
	v_mul_f64 v[6:7], v[48:49], v[24:25]
	v_fma_f64 v[94:95], v[46:47], v[22:23], -v[6:7]
	s_waitcnt lgkmcnt(0)
	v_mul_f64 v[6:7], v[12:13], v[28:29]
	v_mul_f64 v[46:47], v[46:47], v[24:25]
	v_fma_f64 v[96:97], v[10:11], v[26:27], -v[6:7]
	v_mul_f64 v[10:11], v[10:11], v[28:29]
	v_add3_u32 v16, 0, v0, v8
	v_lshlrev_b32_e32 v0, 8, v76
	v_mul_f64 v[56:57], v[34:35], v[24:25]
	v_fmac_f64_e32 v[46:47], v[48:49], v[22:23]
	v_fmac_f64_e32 v[10:11], v[12:13], v[26:27]
	v_add3_u32 v12, 0, v0, v8
	v_lshlrev_b32_e32 v0, 8, v74
	v_lshlrev_b32_e32 v49, 1, v72
	v_fmac_f64_e32 v[56:57], v[36:37], v[22:23]
	v_mul_f64 v[88:89], v[50:51], v[24:25]
	v_mul_f64 v[92:93], v[58:59], v[24:25]
	v_add3_u32 v6, 0, v0, v8
	v_add_f64 v[50:51], v[18:19], -v[2:3]
	v_lshlrev_b32_e32 v0, 8, v1
	v_and_or_b32 v2, v49, s8, v45
	v_fmac_f64_e32 v[88:89], v[52:53], v[22:23]
	v_fmac_f64_e32 v[92:93], v[60:61], v[22:23]
	ds_read_b128 v[22:25], v40
	ds_read_b128 v[26:29], v41
	v_add_f64 v[34:35], v[30:31], -v[54:55]
	v_add_f64 v[36:37], v[32:33], -v[56:57]
	;; [unrolled: 1-line block ×3, first 2 shown]
	v_add3_u32 v7, 0, v0, v8
	v_lshlrev_b32_e32 v0, 8, v69
	v_lshlrev_b32_e32 v2, 8, v2
	v_fma_f64 v[30:31], v[30:31], 2.0, -v[34:35]
	v_fma_f64 v[32:33], v[32:33], 2.0, -v[36:37]
	;; [unrolled: 1-line block ×4, first 2 shown]
	v_add3_u32 v0, 0, v0, v8
	v_add3_u32 v2, 0, v2, v8
	ds_read_b128 v[54:57], v16
	ds_read_b128 v[58:61], v12
	ds_read_b128 v[62:65], v6
	ds_read_b128 v[78:81], v7
	s_waitcnt lgkmcnt(0)
	; wave barrier
	s_waitcnt lgkmcnt(0)
	ds_write_b128 v0, v[30:33]
	ds_write_b128 v0, v[34:37] offset:2048
	ds_write_b128 v2, v[18:21]
	ds_write_b128 v2, v[50:53] offset:2048
	v_lshlrev_b32_e32 v51, 1, v70
	v_and_or_b32 v2, v51, s8, v69
	v_add_f64 v[18:19], v[22:23], -v[86:87]
	v_add_f64 v[20:21], v[24:25], -v[88:89]
	v_lshlrev_b32_e32 v2, 8, v2
	v_fma_f64 v[22:23], v[22:23], 2.0, -v[18:19]
	v_fma_f64 v[24:25], v[24:25], 2.0, -v[20:21]
	v_add3_u32 v2, 0, v2, v8
	v_lshlrev_b32_e32 v50, 1, v75
	ds_write_b128 v2, v[22:25]
	ds_write_b128 v2, v[18:21] offset:2048
	v_and_or_b32 v2, v50, s8, v77
	v_add_f64 v[30:31], v[26:27], -v[42:43]
	v_add_f64 v[32:33], v[28:29], -v[82:83]
	v_lshlrev_b32_e32 v2, 8, v2
	v_fma_f64 v[26:27], v[26:27], 2.0, -v[30:31]
	v_fma_f64 v[28:29], v[28:29], 2.0, -v[32:33]
	v_add3_u32 v2, 0, v2, v8
	v_lshlrev_b32_e32 v48, 1, v71
	ds_write_b128 v2, v[26:29]
	ds_write_b128 v2, v[30:33] offset:2048
	v_and_or_b32 v2, v48, s8, v69
	v_add_f64 v[34:35], v[54:55], -v[90:91]
	v_add_f64 v[36:37], v[56:57], -v[92:93]
	v_lshlrev_b32_e32 v2, 8, v2
	v_fma_f64 v[52:53], v[54:55], 2.0, -v[34:35]
	v_fma_f64 v[54:55], v[56:57], 2.0, -v[36:37]
	v_add_f64 v[88:89], v[64:65], -v[46:47]
	v_add3_u32 v2, 0, v2, v8
	v_lshlrev_b32_e32 v47, 1, v76
	ds_write_b128 v2, v[52:55]
	ds_write_b128 v2, v[34:37] offset:2048
	v_and_or_b32 v2, v47, s8, v98
	v_add_f64 v[82:83], v[58:59], -v[14:15]
	v_add_f64 v[84:85], v[60:61], -v[84:85]
	v_lshlrev_b32_e32 v2, 8, v2
	v_fma_f64 v[56:57], v[58:59], 2.0, -v[82:83]
	v_fma_f64 v[58:59], v[60:61], 2.0, -v[84:85]
	v_add3_u32 v2, 0, v2, v8
	v_lshlrev_b32_e32 v46, 1, v74
	ds_write_b128 v2, v[56:59]
	ds_write_b128 v2, v[82:85] offset:2048
	v_and_or_b32 v2, v46, s8, v69
	v_add_f64 v[86:87], v[62:63], -v[94:95]
	v_lshlrev_b32_e32 v2, 8, v2
	v_fma_f64 v[60:61], v[62:63], 2.0, -v[86:87]
	v_fma_f64 v[62:63], v[64:65], 2.0, -v[88:89]
	v_add3_u32 v2, 0, v2, v8
	v_lshlrev_b32_e32 v45, 1, v1
	ds_write_b128 v2, v[60:63]
	ds_write_b128 v2, v[86:89] offset:2048
	v_and_or_b32 v2, v45, s8, v99
	v_add_f64 v[90:91], v[78:79], -v[96:97]
	v_add_f64 v[92:93], v[80:81], -v[10:11]
	v_lshlrev_b32_e32 v2, 8, v2
	v_fma_f64 v[78:79], v[78:79], 2.0, -v[90:91]
	v_fma_f64 v[80:81], v[80:81], 2.0, -v[92:93]
	v_add3_u32 v2, 0, v2, v8
	ds_write_b128 v2, v[78:81]
	ds_write_b128 v2, v[90:93] offset:2048
	v_lshlrev_b32_e32 v2, 4, v9
	s_waitcnt lgkmcnt(0)
	; wave barrier
	s_waitcnt lgkmcnt(0)
	global_load_dwordx4 v[18:21], v2, s[18:19] offset:128
	v_and_b32_e32 v13, 15, v70
	v_lshlrev_b32_e32 v2, 4, v13
	v_and_b32_e32 v17, 15, v75
	global_load_dwordx4 v[22:25], v2, s[18:19] offset:128
	global_load_dwordx4 v[26:29], v4, s[18:19] offset:128
	v_lshlrev_b32_e32 v2, 4, v17
	global_load_dwordx4 v[30:33], v2, s[18:19] offset:128
	v_and_b32_e32 v77, 15, v76
	v_lshlrev_b32_e32 v2, 4, v77
	global_load_dwordx4 v[34:37], v2, s[18:19] offset:128
	v_lshlrev_b32_e32 v2, 4, v102
	global_load_dwordx4 v[52:55], v2, s[18:19] offset:128
	;; [unrolled: 2-line block ×3, first 2 shown]
	ds_read_b128 v[60:63], v44 offset:9216
	ds_read_b128 v[78:81], v44 offset:10240
	s_movk_i32 s8, 0xe0
	s_waitcnt vmcnt(6) lgkmcnt(1)
	v_mul_f64 v[2:3], v[62:63], v[20:21]
	v_mul_f64 v[10:11], v[60:61], v[20:21]
	v_fma_f64 v[2:3], v[60:61], v[18:19], -v[2:3]
	v_fmac_f64_e32 v[10:11], v[62:63], v[18:19]
	ds_read_b128 v[18:21], v44 offset:11264
	ds_read_b128 v[60:63], v44 offset:12288
	;; [unrolled: 1-line block ×3, first 2 shown]
	s_waitcnt vmcnt(5) lgkmcnt(3)
	v_mul_f64 v[14:15], v[80:81], v[24:25]
	v_fma_f64 v[14:15], v[78:79], v[22:23], -v[14:15]
	v_mul_f64 v[38:39], v[78:79], v[24:25]
	s_waitcnt vmcnt(3) lgkmcnt(2)
	v_mul_f64 v[78:79], v[20:21], v[32:33]
	s_waitcnt lgkmcnt(0)
	v_mul_f64 v[64:65], v[82:83], v[28:29]
	v_mul_f64 v[42:43], v[84:85], v[28:29]
	v_fmac_f64_e32 v[64:65], v[84:85], v[26:27]
	v_mul_f64 v[84:85], v[18:19], v[32:33]
	v_fma_f64 v[42:43], v[82:83], v[26:27], -v[42:43]
	v_fma_f64 v[82:83], v[18:19], v[30:31], -v[78:79]
	v_fmac_f64_e32 v[84:85], v[20:21], v[30:31]
	ds_read_b128 v[18:21], v44 offset:13312
	v_mul_f64 v[30:31], v[62:63], v[28:29]
	v_mul_f64 v[88:89], v[60:61], v[28:29]
	v_fma_f64 v[86:87], v[60:61], v[26:27], -v[30:31]
	v_fmac_f64_e32 v[88:89], v[62:63], v[26:27]
	ds_read_b128 v[26:29], v44 offset:14336
	s_waitcnt vmcnt(2) lgkmcnt(1)
	v_mul_f64 v[30:31], v[20:21], v[36:37]
	v_mul_f64 v[92:93], v[18:19], v[36:37]
	v_fma_f64 v[90:91], v[18:19], v[34:35], -v[30:31]
	v_fmac_f64_e32 v[92:93], v[20:21], v[34:35]
	ds_read_b128 v[18:21], v44 offset:15360
	v_fmac_f64_e32 v[38:39], v[80:81], v[22:23]
	ds_read_b128 v[22:25], v44
	s_waitcnt vmcnt(1) lgkmcnt(2)
	v_mul_f64 v[30:31], v[28:29], v[54:55]
	v_mul_f64 v[96:97], v[26:27], v[54:55]
	v_fma_f64 v[94:95], v[26:27], v[52:53], -v[30:31]
	v_fmac_f64_e32 v[96:97], v[28:29], v[52:53]
	ds_read_b128 v[26:29], v5
	s_waitcnt vmcnt(0) lgkmcnt(2)
	v_mul_f64 v[30:31], v[20:21], v[58:59]
	v_mul_f64 v[100:101], v[18:19], v[58:59]
	v_fma_f64 v[98:99], v[18:19], v[56:57], -v[30:31]
	v_fmac_f64_e32 v[100:101], v[20:21], v[56:57]
	s_waitcnt lgkmcnt(1)
	v_add_f64 v[18:19], v[22:23], -v[42:43]
	v_add_f64 v[20:21], v[24:25], -v[64:65]
	v_fma_f64 v[22:23], v[22:23], 2.0, -v[18:19]
	v_fma_f64 v[24:25], v[24:25], 2.0, -v[20:21]
	ds_read_b128 v[30:33], v40
	ds_read_b128 v[34:37], v41
	;; [unrolled: 1-line block ×6, first 2 shown]
	s_waitcnt lgkmcnt(0)
	; wave barrier
	s_waitcnt lgkmcnt(0)
	ds_write_b128 v0, v[22:25]
	ds_write_b128 v0, v[18:21] offset:4096
	v_and_or_b32 v0, v49, s8, v9
	v_add_f64 v[18:19], v[26:27], -v[2:3]
	v_add_f64 v[20:21], v[28:29], -v[10:11]
	v_lshlrev_b32_e32 v0, 8, v0
	v_fma_f64 v[22:23], v[26:27], 2.0, -v[18:19]
	v_fma_f64 v[24:25], v[28:29], 2.0, -v[20:21]
	v_add3_u32 v0, 0, v0, v8
	ds_write_b128 v0, v[22:25]
	ds_write_b128 v0, v[18:21] offset:4096
	v_and_or_b32 v0, v51, s8, v13
	v_add_f64 v[18:19], v[30:31], -v[14:15]
	v_add_f64 v[20:21], v[32:33], -v[38:39]
	v_lshlrev_b32_e32 v0, 8, v0
	v_fma_f64 v[22:23], v[30:31], 2.0, -v[18:19]
	v_fma_f64 v[24:25], v[32:33], 2.0, -v[20:21]
	v_add3_u32 v0, 0, v0, v8
	;; [unrolled: 9-line block ×7, first 2 shown]
	ds_write_b128 v0, v[78:81]
	ds_write_b128 v0, v[82:85] offset:4096
	s_waitcnt lgkmcnt(0)
	; wave barrier
	s_waitcnt lgkmcnt(0)
	s_and_saveexec_b64 s[8:9], s[2:3]
	s_cbranch_execz .LBB0_12
; %bb.11:
	s_load_dwordx2 s[2:3], s[0:1], 0x8
	v_and_b32_e32 v52, 31, v1
	v_or_b32_e32 v8, 32, v52
	v_mul_lo_u32 v8, v66, v8
	v_mov_b32_e32 v53, 4
	v_lshlrev_b32_e32 v0, 4, v52
	v_lshlrev_b32_sdwa v9, v53, v8 dst_sel:DWORD dst_unused:UNUSED_PAD src0_sel:DWORD src1_sel:BYTE_0
	global_load_dwordx4 v[0:3], v0, s[18:19] offset:384
	v_mov_b32_e32 v67, 0x1000
	s_waitcnt lgkmcnt(0)
	global_load_dwordx4 v[18:21], v9, s[2:3]
	v_bfe_u32 v9, v8, 8, 8
	v_lshl_or_b32 v9, v9, 4, v67
	v_mul_lo_u32 v13, v66, v52
	global_load_dwordx4 v[32:35], v9, s[2:3]
	v_bfe_u32 v10, v13, 8, 8
	v_bfe_u32 v8, v8, 16, 8
	v_mov_b32_e32 v136, 0x2000
	v_lshlrev_b32_sdwa v9, v53, v13 dst_sel:DWORD dst_unused:UNUSED_PAD src0_sel:DWORD src1_sel:BYTE_0
	v_lshl_or_b32 v10, v10, 4, v67
	v_lshl_or_b32 v8, v8, 4, v136
	global_load_dwordx4 v[36:39], v9, s[2:3]
	global_load_dwordx4 v[56:59], v10, s[2:3]
	v_bfe_u32 v13, v13, 16, 8
	global_load_dwordx4 v[8:11], v8, s[2:3]
	v_lshl_or_b32 v13, v13, 4, v136
	global_load_dwordx4 v[60:63], v13, s[2:3]
	v_and_b32_e32 v54, 31, v74
	v_or_b32_e32 v13, 32, v54
	v_mul_lo_u32 v13, v66, v13
	v_lshlrev_b32_sdwa v14, v53, v13 dst_sel:DWORD dst_unused:UNUSED_PAD src0_sel:DWORD src1_sel:BYTE_0
	global_load_dwordx4 v[78:81], v14, s[2:3]
	v_bfe_u32 v14, v13, 8, 8
	v_lshl_or_b32 v14, v14, 4, v67
	global_load_dwordx4 v[82:85], v14, s[2:3]
	v_lshlrev_b32_e32 v14, 4, v54
	global_load_dwordx4 v[86:89], v14, s[18:19] offset:384
	v_bfe_u32 v13, v13, 16, 8
	ds_read_b128 v[90:93], v7
	ds_read_b128 v[94:97], v6
	ds_read_b128 v[98:101], v44 offset:15360
	ds_read_b128 v[28:31], v5
	v_mul_lo_u32 v5, v66, v54
	v_lshl_or_b32 v13, v13, 4, v136
	v_lshlrev_b32_sdwa v7, v53, v5 dst_sel:DWORD dst_unused:UNUSED_PAD src0_sel:DWORD src1_sel:BYTE_0
	global_load_dwordx4 v[102:105], v13, s[2:3]
	v_bfe_u32 v13, v5, 8, 8
	v_lshl_or_b32 v13, v13, 4, v67
	global_load_dwordx4 v[106:109], v7, s[2:3]
	global_load_dwordx4 v[110:113], v13, s[2:3]
	v_and_b32_e32 v55, 31, v76
	v_lshlrev_b32_e32 v6, 4, v55
	v_or_b32_e32 v7, 32, v55
	v_bfe_u32 v5, v5, 16, 8
	global_load_dwordx4 v[114:117], v6, s[18:19] offset:384
	global_load_dwordx4 v[24:27], v4, s[18:19] offset:384
	v_mul_lo_u32 v6, v66, v7
	v_lshl_or_b32 v4, v5, 4, v136
	v_bfe_u32 v5, v6, 16, 8
	v_lshlrev_b32_sdwa v7, v53, v6 dst_sel:DWORD dst_unused:UNUSED_PAD src0_sel:DWORD src1_sel:BYTE_0
	v_bfe_u32 v6, v6, 8, 8
	v_lshl_or_b32 v5, v5, 4, v136
	v_lshl_or_b32 v6, v6, 4, v67
	global_load_dwordx4 v[118:121], v4, s[2:3]
	global_load_dwordx4 v[122:125], v5, s[2:3]
	;; [unrolled: 1-line block ×4, first 2 shown]
	v_mul_lo_u32 v13, v66, v55
	v_and_b32_e32 v137, 31, v71
	v_lshlrev_b32_sdwa v17, v53, v13 dst_sel:DWORD dst_unused:UNUSED_PAD src0_sel:DWORD src1_sel:BYTE_0
	v_mul_lo_u32 v71, v66, v137
	v_and_b32_e32 v72, 31, v72
	s_mul_i32 s7, s7, s14
	s_mul_hi_u32 s8, s6, s14
	s_add_i32 s7, s8, s7
	s_load_dwordx2 s[0:1], s[0:1], 0x60
	s_mul_i32 s6, s6, s14
	s_waitcnt vmcnt(18) lgkmcnt(0)
	v_mul_f64 v[4:5], v[98:99], v[2:3]
	v_mul_f64 v[2:3], v[100:101], v[2:3]
	v_fmac_f64_e32 v[4:5], v[100:101], v[0:1]
	v_fma_f64 v[0:1], v[98:99], v[0:1], -v[2:3]
	v_add_f64 v[14:15], v[90:91], -v[0:1]
	v_add_f64 v[4:5], v[92:93], -v[4:5]
	s_waitcnt vmcnt(16)
	v_mul_f64 v[0:1], v[20:21], v[34:35]
	v_mul_f64 v[2:3], v[18:19], v[34:35]
	v_fma_f64 v[0:1], v[18:19], v[32:33], -v[0:1]
	v_fmac_f64_e32 v[2:3], v[20:21], v[32:33]
	v_fma_f64 v[42:43], v[92:93], 2.0, -v[4:5]
	s_waitcnt vmcnt(14)
	v_mul_f64 v[18:19], v[36:37], v[58:59]
	v_mul_f64 v[6:7], v[38:39], v[58:59]
	s_waitcnt vmcnt(13)
	v_mul_f64 v[20:21], v[2:3], v[10:11]
	v_mul_f64 v[10:11], v[0:1], v[10:11]
	v_fmac_f64_e32 v[18:19], v[38:39], v[56:57]
	v_fmac_f64_e32 v[10:11], v[8:9], v[2:3]
	v_fma_f64 v[6:7], v[36:37], v[56:57], -v[6:7]
	s_waitcnt vmcnt(12)
	v_mul_f64 v[22:23], v[18:19], v[62:63]
	v_fma_f64 v[0:1], v[8:9], v[0:1], -v[20:21]
	v_mul_f64 v[2:3], v[14:15], v[10:11]
	v_mul_f64 v[10:11], v[4:5], v[10:11]
	v_fma_f64 v[8:9], v[60:61], v[6:7], -v[22:23]
	v_fmac_f64_e32 v[2:3], v[4:5], v[0:1]
	v_fma_f64 v[0:1], v[14:15], v[0:1], -v[10:11]
	v_mul_f64 v[10:11], v[6:7], v[62:63]
	ds_read_b128 v[4:7], v44 offset:14336
	v_bfe_u32 v20, v13, 8, 8
	v_bfe_u32 v13, v13, 16, 8
	v_fmac_f64_e32 v[10:11], v[60:61], v[18:19]
	v_lshl_or_b32 v36, v20, 4, v67
	s_waitcnt vmcnt(9) lgkmcnt(0)
	v_mul_f64 v[92:93], v[4:5], v[88:89]
	v_fmac_f64_e32 v[92:93], v[6:7], v[86:87]
	v_mul_f64 v[6:7], v[6:7], v[88:89]
	v_fma_f64 v[134:135], v[4:5], v[86:87], -v[6:7]
	v_lshlrev_b32_e32 v4, 4, v137
	global_load_dwordx4 v[20:23], v17, s[2:3]
	global_load_dwordx4 v[32:35], v36, s[2:3]
	v_lshl_or_b32 v13, v13, 4, v136
	global_load_dwordx4 v[60:63], v4, s[18:19] offset:384
	v_or_b32_e32 v4, 32, v137
	global_load_dwordx4 v[36:39], v13, s[2:3]
	v_mul_lo_u32 v13, v66, v4
	v_mul_f64 v[18:19], v[80:81], v[84:85]
	v_lshlrev_b32_sdwa v4, v53, v13 dst_sel:DWORD dst_unused:UNUSED_PAD src0_sel:DWORD src1_sel:BYTE_0
	v_fma_f64 v[18:19], v[78:79], v[82:83], -v[18:19]
	v_mul_f64 v[64:65], v[78:79], v[84:85]
	global_load_dwordx4 v[76:79], v4, s[2:3]
	v_bfe_u32 v4, v13, 8, 8
	v_lshl_or_b32 v4, v4, 4, v67
	v_fmac_f64_e32 v[64:65], v[80:81], v[82:83]
	global_load_dwordx4 v[80:83], v4, s[2:3]
	v_fma_f64 v[4:5], v[90:91], 2.0, -v[14:15]
	v_mul_f64 v[6:7], v[4:5], v[10:11]
	v_mul_f64 v[10:11], v[42:43], v[10:11]
	v_fma_f64 v[4:5], v[4:5], v[8:9], -v[10:11]
	s_waitcnt vmcnt(14)
	v_mul_f64 v[10:11], v[64:65], v[104:105]
	v_fma_f64 v[14:15], v[102:103], v[18:19], -v[10:11]
	v_mul_f64 v[18:19], v[18:19], v[104:105]
	s_waitcnt vmcnt(12)
	v_mul_f64 v[10:11], v[108:109], v[112:113]
	v_fmac_f64_e32 v[18:19], v[102:103], v[64:65]
	v_fma_f64 v[64:65], v[106:107], v[110:111], -v[10:11]
	v_bfe_u32 v10, v13, 16, 8
	v_lshlrev_b32_sdwa v11, v53, v71 dst_sel:DWORD dst_unused:UNUSED_PAD src0_sel:DWORD src1_sel:BYTE_0
	v_bfe_u32 v13, v71, 8, 8
	ds_read_b128 v[56:59], v44 offset:13312
	v_lshl_or_b32 v13, v13, 4, v67
	global_load_dwordx4 v[84:87], v11, s[2:3]
	global_load_dwordx4 v[88:91], v13, s[2:3]
	v_lshl_or_b32 v10, v10, 4, v136
	global_load_dwordx4 v[98:101], v10, s[2:3]
	v_mul_f64 v[102:103], v[106:107], v[112:113]
	v_fmac_f64_e32 v[6:7], v[42:43], v[8:9]
	v_add_f64 v[42:43], v[96:97], -v[92:93]
	v_add_f64 v[92:93], v[94:95], -v[134:135]
	v_fmac_f64_e32 v[102:103], v[108:109], v[110:111]
	v_mul_f64 v[10:11], v[92:93], v[18:19]
	v_mul_f64 v[8:9], v[42:43], v[18:19]
	v_fmac_f64_e32 v[10:11], v[42:43], v[14:15]
	v_fma_f64 v[8:9], v[92:93], v[14:15], -v[8:9]
	s_waitcnt vmcnt(12)
	v_mul_f64 v[14:15], v[102:103], v[120:121]
	v_fma_f64 v[18:19], v[96:97], 2.0, -v[42:43]
	v_fma_f64 v[42:43], v[118:119], v[64:65], -v[14:15]
	v_mul_f64 v[64:65], v[64:65], v[120:121]
	v_fma_f64 v[96:97], v[94:95], 2.0, -v[92:93]
	v_fmac_f64_e32 v[64:65], v[118:119], v[102:103]
	ds_read_b128 v[92:95], v12
	ds_read_b128 v[102:105], v16
	v_mul_f64 v[14:15], v[96:97], v[64:65]
	v_fmac_f64_e32 v[14:15], v[18:19], v[42:43]
	v_mul_f64 v[18:19], v[18:19], v[64:65]
	v_fma_f64 v[12:13], v[96:97], v[42:43], -v[18:19]
	s_waitcnt lgkmcnt(2)
	v_mul_f64 v[18:19], v[56:57], v[116:117]
	v_fmac_f64_e32 v[18:19], v[58:59], v[114:115]
	s_waitcnt lgkmcnt(1)
	v_add_f64 v[42:43], v[94:95], -v[18:19]
	s_waitcnt vmcnt(9)
	v_mul_f64 v[18:19], v[126:127], v[132:133]
	v_mul_f64 v[16:17], v[128:129], v[132:133]
	v_fmac_f64_e32 v[18:19], v[128:129], v[130:131]
	v_mul_f64 v[58:59], v[58:59], v[116:117]
	v_fma_f64 v[16:17], v[126:127], v[130:131], -v[16:17]
	v_mul_f64 v[64:65], v[18:19], v[124:125]
	v_fma_f64 v[56:57], v[56:57], v[114:115], -v[58:59]
	v_fma_f64 v[64:65], v[122:123], v[16:17], -v[64:65]
	v_mul_f64 v[16:17], v[16:17], v[124:125]
	v_add_f64 v[56:57], v[92:93], -v[56:57]
	v_fmac_f64_e32 v[16:17], v[122:123], v[18:19]
	v_mul_f64 v[18:19], v[56:57], v[16:17]
	v_mul_f64 v[16:17], v[42:43], v[16:17]
	v_and_b32_e32 v126, 31, v75
	v_fmac_f64_e32 v[18:19], v[42:43], v[64:65]
	v_fma_f64 v[16:17], v[56:57], v[64:65], -v[16:17]
	v_fma_f64 v[42:43], v[94:95], 2.0, -v[42:43]
	v_fma_f64 v[56:57], v[92:93], 2.0, -v[56:57]
	v_and_b32_e32 v127, 31, v70
	s_waitcnt vmcnt(7)
	v_mul_f64 v[58:59], v[22:23], v[34:35]
	v_fma_f64 v[58:59], v[20:21], v[32:33], -v[58:59]
	v_mul_f64 v[20:21], v[20:21], v[34:35]
	v_fmac_f64_e32 v[20:21], v[22:23], v[32:33]
	ds_read_b128 v[32:35], v44 offset:12288
	s_waitcnt vmcnt(5)
	v_mul_f64 v[22:23], v[20:21], v[38:39]
	v_mul_f64 v[38:39], v[58:59], v[38:39]
	v_fma_f64 v[64:65], v[36:37], v[58:59], -v[22:23]
	v_fmac_f64_e32 v[38:39], v[36:37], v[20:21]
	v_bfe_u32 v36, v71, 16, 8
	v_lshlrev_b32_e32 v71, 4, v126
	v_lshl_or_b32 v36, v36, 4, v136
	global_load_dwordx4 v[92:95], v71, s[18:19] offset:384
	v_or_b32_e32 v71, 32, v126
	v_mul_f64 v[22:23], v[56:57], v[38:39]
	v_mul_f64 v[20:21], v[42:43], v[38:39]
	global_load_dwordx4 v[36:39], v36, s[2:3]
	v_mul_lo_u32 v71, v66, v71
	v_fmac_f64_e32 v[22:23], v[42:43], v[64:65]
	v_fma_f64 v[20:21], v[56:57], v[64:65], -v[20:21]
	ds_read_b128 v[56:59], v44 offset:11264
	s_waitcnt lgkmcnt(1)
	v_mul_f64 v[42:43], v[32:33], v[62:63]
	v_bfe_u32 v74, v71, 16, 8
	v_lshlrev_b32_sdwa v75, v53, v71 dst_sel:DWORD dst_unused:UNUSED_PAD src0_sel:DWORD src1_sel:BYTE_0
	v_bfe_u32 v71, v71, 8, 8
	v_fmac_f64_e32 v[42:43], v[34:35], v[60:61]
	v_lshl_or_b32 v74, v74, 4, v136
	v_lshl_or_b32 v71, v71, 4, v67
	v_mul_f64 v[34:35], v[34:35], v[62:63]
	global_load_dwordx4 v[106:109], v74, s[2:3]
	global_load_dwordx4 v[110:113], v75, s[2:3]
	;; [unrolled: 1-line block ×3, first 2 shown]
	v_fma_f64 v[32:33], v[32:33], v[60:61], -v[34:35]
	s_waitcnt vmcnt(6)
	v_mul_f64 v[34:35], v[86:87], v[90:91]
	v_fma_f64 v[118:119], v[84:85], v[88:89], -v[34:35]
	v_mul_lo_u32 v34, v66, v126
	v_mul_f64 v[64:65], v[78:79], v[82:83]
	v_lshlrev_b32_sdwa v35, v53, v34 dst_sel:DWORD dst_unused:UNUSED_PAD src0_sel:DWORD src1_sel:BYTE_0
	v_bfe_u32 v60, v34, 8, 8
	v_fma_f64 v[64:65], v[76:77], v[80:81], -v[64:65]
	v_mul_f64 v[96:97], v[76:77], v[82:83]
	v_lshl_or_b32 v71, v60, 4, v67
	global_load_dwordx4 v[60:63], v35, s[2:3]
	global_load_dwordx4 v[74:77], v71, s[2:3]
	v_bfe_u32 v34, v34, 16, 8
	v_lshl_or_b32 v34, v34, 4, v136
	v_fmac_f64_e32 v[96:97], v[78:79], v[80:81]
	global_load_dwordx4 v[78:81], v34, s[2:3]
	v_or_b32_e32 v34, 32, v127
	v_mul_lo_u32 v122, v66, v34
	v_bfe_u32 v35, v122, 8, 8
	v_mul_f64 v[90:91], v[84:85], v[90:91]
	v_lshlrev_b32_sdwa v34, v53, v122 dst_sel:DWORD dst_unused:UNUSED_PAD src0_sel:DWORD src1_sel:BYTE_0
	v_lshl_or_b32 v35, v35, 4, v67
	v_fmac_f64_e32 v[90:91], v[86:87], v[88:89]
	global_load_dwordx4 v[82:85], v35, s[2:3]
	global_load_dwordx4 v[86:89], v34, s[2:3]
	s_waitcnt vmcnt(10)
	v_mul_f64 v[34:35], v[96:97], v[100:101]
	v_fma_f64 v[70:71], v[98:99], v[64:65], -v[34:35]
	v_add_f64 v[120:121], v[102:103], -v[32:33]
	v_mul_f64 v[32:33], v[64:65], v[100:101]
	v_lshlrev_b32_e32 v64, 4, v127
	v_fmac_f64_e32 v[32:33], v[98:99], v[96:97]
	global_load_dwordx4 v[96:99], v64, s[18:19] offset:384
	v_add_f64 v[42:43], v[104:105], -v[42:43]
	v_mul_f64 v[34:35], v[120:121], v[32:33]
	v_mul_f64 v[32:33], v[42:43], v[32:33]
	v_fma_f64 v[32:33], v[120:121], v[70:71], -v[32:33]
	v_fmac_f64_e32 v[34:35], v[42:43], v[70:71]
	v_bfe_u32 v70, v122, 16, 8
	v_lshl_or_b32 v70, v70, 4, v136
	v_fma_f64 v[42:43], v[104:105], 2.0, -v[42:43]
	v_fma_f64 v[64:65], v[102:103], 2.0, -v[120:121]
	global_load_dwordx4 v[100:103], v70, s[2:3]
	s_waitcnt vmcnt(10)
	v_mul_f64 v[70:71], v[90:91], v[38:39]
	v_mul_f64 v[104:105], v[118:119], v[38:39]
	v_fma_f64 v[70:71], v[36:37], v[118:119], -v[70:71]
	v_fmac_f64_e32 v[104:105], v[36:37], v[90:91]
	ds_read_b128 v[118:121], v41
	v_mul_f64 v[38:39], v[64:65], v[104:105]
	v_mul_f64 v[36:37], v[42:43], v[104:105]
	v_fmac_f64_e32 v[38:39], v[42:43], v[70:71]
	v_fma_f64 v[36:37], v[64:65], v[70:71], -v[36:37]
	s_waitcnt lgkmcnt(1)
	v_mul_f64 v[42:43], v[56:57], v[94:95]
	v_fmac_f64_e32 v[42:43], v[58:59], v[92:93]
	s_waitcnt vmcnt(7)
	v_mul_f64 v[70:71], v[110:111], v[116:117]
	v_mul_f64 v[64:65], v[112:113], v[116:117]
	v_fmac_f64_e32 v[70:71], v[112:113], v[114:115]
	v_fma_f64 v[64:65], v[110:111], v[114:115], -v[64:65]
	ds_read_b128 v[110:113], v40
	v_mul_f64 v[40:41], v[70:71], v[108:109]
	s_waitcnt lgkmcnt(1)
	v_add_f64 v[104:105], v[120:121], -v[42:43]
	v_fma_f64 v[90:91], v[106:107], v[64:65], -v[40:41]
	v_mul_f64 v[40:41], v[58:59], v[94:95]
	v_fma_f64 v[92:93], v[56:57], v[92:93], -v[40:41]
	v_mul_f64 v[64:65], v[64:65], v[108:109]
	s_waitcnt vmcnt(5)
	v_mul_f64 v[42:43], v[60:61], v[76:77]
	v_mul_f64 v[40:41], v[62:63], v[76:77]
	v_fmac_f64_e32 v[42:43], v[62:63], v[74:75]
	v_fma_f64 v[40:41], v[60:61], v[74:75], -v[40:41]
	s_waitcnt vmcnt(4)
	v_mul_f64 v[56:57], v[42:43], v[80:81]
	v_fmac_f64_e32 v[64:65], v[106:107], v[70:71]
	v_fma_f64 v[70:71], v[78:79], v[40:41], -v[56:57]
	v_mul_f64 v[94:95], v[40:41], v[80:81]
	v_mul_lo_u32 v40, v66, v127
	v_bfe_u32 v41, v40, 16, 8
	v_lshl_or_b32 v41, v41, 4, v136
	global_load_dwordx4 v[56:59], v41, s[2:3]
	v_lshlrev_b32_sdwa v41, v53, v40 dst_sel:DWORD dst_unused:UNUSED_PAD src0_sel:DWORD src1_sel:BYTE_0
	v_bfe_u32 v40, v40, 8, 8
	v_lshl_or_b32 v40, v40, 4, v67
	v_fmac_f64_e32 v[94:95], v[78:79], v[42:43]
	global_load_dwordx4 v[60:63], v41, s[2:3]
	global_load_dwordx4 v[74:77], v40, s[2:3]
	ds_read_b128 v[40:43], v44 offset:10240
	s_waitcnt vmcnt(5)
	v_mul_f64 v[78:79], v[88:89], v[84:85]
	v_fma_f64 v[108:109], v[86:87], v[82:83], -v[78:79]
	ds_read_b128 v[78:81], v44 offset:9216
	v_mul_f64 v[114:115], v[86:87], v[84:85]
	s_waitcnt vmcnt(4) lgkmcnt(1)
	v_mul_f64 v[116:117], v[40:41], v[98:99]
	v_fmac_f64_e32 v[116:117], v[42:43], v[96:97]
	v_mul_f64 v[42:43], v[42:43], v[98:99]
	v_fma_f64 v[98:99], v[40:41], v[96:97], -v[42:43]
	v_or_b32_e32 v40, 32, v72
	v_mul_lo_u32 v106, v66, v40
	v_bfe_u32 v41, v106, 8, 8
	v_lshlrev_b32_sdwa v40, v53, v106 dst_sel:DWORD dst_unused:UNUSED_PAD src0_sel:DWORD src1_sel:BYTE_0
	v_lshl_or_b32 v41, v41, 4, v67
	v_add_f64 v[96:97], v[118:119], -v[92:93]
	v_fmac_f64_e32 v[114:115], v[88:89], v[82:83]
	global_load_dwordx4 v[82:85], v41, s[2:3]
	global_load_dwordx4 v[86:89], v40, s[2:3]
	v_mul_f64 v[42:43], v[96:97], v[64:65]
	v_mul_f64 v[40:41], v[104:105], v[64:65]
	v_lshlrev_b32_e32 v64, 4, v72
	v_fmac_f64_e32 v[42:43], v[104:105], v[90:91]
	v_fma_f64 v[40:41], v[96:97], v[90:91], -v[40:41]
	global_load_dwordx4 v[90:93], v64, s[18:19] offset:384
	v_fma_f64 v[64:65], v[120:121], 2.0, -v[104:105]
	v_fma_f64 v[104:105], v[118:119], 2.0, -v[96:97]
	v_mul_f64 v[96:97], v[104:105], v[94:95]
	v_mul_f64 v[94:95], v[64:65], v[94:95]
	v_fma_f64 v[94:95], v[104:105], v[70:71], -v[94:95]
	v_fmac_f64_e32 v[96:97], v[64:65], v[70:71]
	v_add_f64 v[64:65], v[112:113], -v[116:117]
	s_waitcnt vmcnt(6)
	v_mul_f64 v[70:71], v[114:115], v[102:103]
	v_add_f64 v[116:117], v[110:111], -v[98:99]
	v_mul_f64 v[98:99], v[108:109], v[102:103]
	v_bfe_u32 v104, v106, 16, 8
	v_fma_f64 v[70:71], v[100:101], v[108:109], -v[70:71]
	v_fmac_f64_e32 v[98:99], v[100:101], v[114:115]
	v_lshl_or_b32 v104, v104, 4, v136
	global_load_dwordx4 v[104:107], v104, s[2:3]
	s_waitcnt vmcnt(4)
	v_mul_f64 v[100:101], v[62:63], v[76:77]
	v_fma_f64 v[100:101], v[60:61], v[74:75], -v[100:101]
	v_mul_f64 v[60:61], v[60:61], v[76:77]
	v_fmac_f64_e32 v[60:61], v[62:63], v[74:75]
	v_mul_f64 v[62:63], v[60:61], v[58:59]
	v_mul_f64 v[108:109], v[100:101], v[58:59]
	v_fma_f64 v[102:103], v[56:57], v[100:101], -v[62:63]
	v_fmac_f64_e32 v[108:109], v[56:57], v[60:61]
	v_mul_lo_u32 v56, v66, v72
	v_bfe_u32 v57, v56, 16, 8
	v_lshlrev_b32_sdwa v101, v53, v56 dst_sel:DWORD dst_unused:UNUSED_PAD src0_sel:DWORD src1_sel:BYTE_0
	v_bfe_u32 v56, v56, 8, 8
	v_lshl_or_b32 v100, v57, 4, v136
	v_lshl_or_b32 v114, v56, 4, v67
	global_load_dwordx4 v[56:59], v101, s[2:3]
	global_load_dwordx4 v[60:63], v114, s[2:3]
	;; [unrolled: 1-line block ×3, first 2 shown]
	s_waitcnt vmcnt(5)
	v_mul_f64 v[100:101], v[88:89], v[84:85]
	v_mul_f64 v[122:123], v[86:87], v[84:85]
	v_fma_f64 v[120:121], v[86:87], v[82:83], -v[100:101]
	v_fmac_f64_e32 v[122:123], v[88:89], v[82:83]
	v_mul_f64 v[82:83], v[116:117], v[98:99]
	v_mul_f64 v[98:99], v[64:65], v[98:99]
	s_waitcnt vmcnt(4) lgkmcnt(0)
	v_mul_f64 v[124:125], v[78:79], v[92:93]
	v_fmac_f64_e32 v[124:125], v[80:81], v[90:91]
	v_mul_f64 v[80:81], v[80:81], v[92:93]
	v_mul_lo_u32 v92, v66, v73
	v_fma_f64 v[78:79], v[78:79], v[90:91], -v[80:81]
	v_bfe_u32 v81, v92, 8, 8
	v_lshlrev_b32_sdwa v80, v53, v92 dst_sel:DWORD dst_unused:UNUSED_PAD src0_sel:DWORD src1_sel:BYTE_0
	v_lshl_or_b32 v81, v81, 4, v67
	v_fmac_f64_e32 v[82:83], v[64:65], v[70:71]
	global_load_dwordx4 v[84:87], v81, s[2:3]
	global_load_dwordx4 v[88:91], v80, s[2:3]
	v_fma_f64 v[80:81], v[116:117], v[70:71], -v[98:99]
	v_bfe_u32 v70, v92, 16, 8
	v_lshl_or_b32 v70, v70, 4, v136
	global_load_dwordx4 v[98:101], v70, s[2:3]
	v_fma_f64 v[70:71], v[112:113], 2.0, -v[64:65]
	v_fma_f64 v[64:65], v[110:111], 2.0, -v[116:117]
	v_mul_f64 v[92:93], v[70:71], v[108:109]
	v_mul_f64 v[110:111], v[64:65], v[108:109]
	v_fma_f64 v[108:109], v[64:65], v[102:103], -v[92:93]
	v_mul_lo_u32 v92, v66, v69
	v_lshlrev_b32_sdwa v53, v53, v92 dst_sel:DWORD dst_unused:UNUSED_PAD src0_sel:DWORD src1_sel:BYTE_0
	v_bfe_u32 v64, v92, 8, 8
	v_lshl_or_b32 v93, v64, 4, v67
	global_load_dwordx4 v[64:67], v53, s[2:3]
	global_load_dwordx4 v[112:115], v93, s[2:3]
	v_bfe_u32 v53, v92, 16, 8
	v_lshl_or_b32 v53, v53, 4, v136
	global_load_dwordx4 v[116:119], v53, s[2:3]
	v_fmac_f64_e32 v[110:111], v[70:71], v[102:103]
	s_waitcnt vmcnt(9)
	v_mul_f64 v[102:103], v[120:121], v[106:107]
	v_mul_f64 v[92:93], v[122:123], v[106:107]
	v_add_f64 v[78:79], v[28:29], -v[78:79]
	v_fmac_f64_e32 v[102:103], v[104:105], v[122:123]
	v_add_f64 v[70:71], v[30:31], -v[124:125]
	v_fma_f64 v[92:93], v[104:105], v[120:121], -v[92:93]
	v_mul_f64 v[104:105], v[78:79], v[102:103]
	v_fmac_f64_e32 v[104:105], v[70:71], v[92:93]
	v_mul_f64 v[102:103], v[70:71], v[102:103]
	v_fma_f64 v[70:71], v[30:31], 2.0, -v[70:71]
	v_fma_f64 v[102:103], v[78:79], v[92:93], -v[102:103]
	v_fma_f64 v[78:79], v[28:29], 2.0, -v[78:79]
	s_mul_i32 s2, s4, s17
	s_mul_hi_u32 s3, s4, s16
	s_add_i32 s2, s3, s2
	s_mul_i32 s3, s5, s16
	s_add_i32 s3, s2, s3
	s_mul_i32 s2, s4, s16
	s_waitcnt vmcnt(7)
	v_mul_f64 v[30:31], v[58:59], v[62:63]
	v_fma_f64 v[30:31], v[56:57], v[60:61], -v[30:31]
	v_mul_f64 v[56:57], v[56:57], v[62:63]
	v_fmac_f64_e32 v[56:57], v[58:59], v[60:61]
	s_waitcnt vmcnt(6)
	v_mul_f64 v[58:59], v[56:57], v[76:77]
	v_mul_f64 v[76:77], v[30:31], v[76:77]
	v_fma_f64 v[60:61], v[74:75], v[30:31], -v[58:59]
	v_fmac_f64_e32 v[76:77], v[74:75], v[56:57]
	ds_read_b128 v[28:31], v44
	ds_read_b128 v[56:59], v44 offset:8192
	v_mul_f64 v[62:63], v[78:79], v[76:77]
	v_fmac_f64_e32 v[62:63], v[70:71], v[60:61]
	v_mul_f64 v[70:71], v[70:71], v[76:77]
	v_fma_f64 v[60:61], v[78:79], v[60:61], -v[70:71]
	s_waitcnt lgkmcnt(0)
	v_mul_f64 v[70:71], v[56:57], v[26:27]
	v_mul_f64 v[26:27], v[58:59], v[26:27]
	v_fmac_f64_e32 v[70:71], v[58:59], v[24:25]
	v_fma_f64 v[24:25], v[56:57], v[24:25], -v[26:27]
	v_add_f64 v[70:71], v[30:31], -v[70:71]
	v_add_f64 v[56:57], v[28:29], -v[24:25]
	s_waitcnt vmcnt(4)
	v_mul_f64 v[74:75], v[90:91], v[86:87]
	v_fma_f64 v[74:75], v[88:89], v[84:85], -v[74:75]
	v_mul_f64 v[76:77], v[88:89], v[86:87]
	v_fmac_f64_e32 v[76:77], v[90:91], v[84:85]
	s_waitcnt vmcnt(3)
	v_mul_f64 v[24:25], v[74:75], v[100:101]
	v_mul_f64 v[78:79], v[76:77], v[100:101]
	v_fmac_f64_e32 v[24:25], v[98:99], v[76:77]
	v_fma_f64 v[58:59], v[30:31], 2.0, -v[70:71]
	v_fma_f64 v[78:79], v[98:99], v[74:75], -v[78:79]
	v_mul_f64 v[26:27], v[56:57], v[24:25]
	v_mul_f64 v[24:25], v[70:71], v[24:25]
	v_fma_f64 v[24:25], v[56:57], v[78:79], -v[24:25]
	v_fma_f64 v[28:29], v[28:29], 2.0, -v[56:57]
	v_fmac_f64_e32 v[26:27], v[70:71], v[78:79]
	s_waitcnt vmcnt(1)
	v_mul_f64 v[30:31], v[66:67], v[114:115]
	v_fma_f64 v[30:31], v[64:65], v[112:113], -v[30:31]
	v_mul_f64 v[64:65], v[64:65], v[114:115]
	v_fmac_f64_e32 v[64:65], v[66:67], v[112:113]
	s_waitcnt vmcnt(0)
	v_mul_f64 v[56:57], v[30:31], v[118:119]
	v_mul_f64 v[66:67], v[64:65], v[118:119]
	v_fmac_f64_e32 v[56:57], v[116:117], v[64:65]
	v_fma_f64 v[66:67], v[116:117], v[30:31], -v[66:67]
	v_mul_f64 v[30:31], v[28:29], v[56:57]
	v_mul_f64 v[56:57], v[58:59], v[56:57]
	v_fma_f64 v[28:29], v[28:29], v[66:67], -v[56:57]
	v_mad_u64_u32 v[56:57], s[8:9], s4, v68, 0
	v_mov_b32_e32 v44, v57
	v_fmac_f64_e32 v[30:31], v[58:59], v[66:67]
	v_mad_u64_u32 v[58:59], s[4:5], s5, v68, v[44:45]
	v_mov_b32_e32 v57, v58
	v_mad_u64_u32 v[58:59], s[4:5], s12, v69, 0
	v_mov_b32_e32 v44, v59
	v_mad_u64_u32 v[64:65], s[4:5], s13, v69, v[44:45]
	s_lshl_b64 s[4:5], s[6:7], 4
	s_add_u32 s4, s0, s4
	s_addc_u32 s5, s1, s5
	s_lshl_b64 s[0:1], s[2:3], 4
	s_add_u32 s0, s4, s0
	s_addc_u32 s1, s5, s1
	v_mov_b32_e32 v59, v64
	v_lshl_add_u64 v[56:57], v[56:57], 4, s[0:1]
	v_lshl_add_u64 v[58:59], v[58:59], 4, v[56:57]
	global_store_dwordx4 v[58:59], v[28:31], off
	s_movk_i32 s2, 0xc0
	s_nop 0
	v_mad_u64_u32 v[28:29], s[0:1], s12, v73, 0
	v_mov_b32_e32 v30, v29
	v_mad_u64_u32 v[30:31], s[0:1], s13, v73, v[30:31]
	v_mov_b32_e32 v29, v30
	v_lshl_add_u64 v[28:29], v[28:29], 4, v[56:57]
	global_store_dwordx4 v[28:29], v[24:27], off
	v_and_or_b32 v28, v49, s2, v72
	s_nop 0
	v_mad_u64_u32 v[24:25], s[0:1], s12, v28, 0
	v_mov_b32_e32 v26, v25
	v_mad_u64_u32 v[26:27], s[0:1], s13, v28, v[26:27]
	v_mov_b32_e32 v25, v26
	v_lshl_add_u64 v[24:25], v[24:25], 4, v[56:57]
	v_or_b32_e32 v27, 32, v28
	global_store_dwordx4 v[24:25], v[60:63], off
	v_mad_u64_u32 v[24:25], s[0:1], s12, v27, 0
	v_mov_b32_e32 v26, v25
	v_mad_u64_u32 v[26:27], s[0:1], s13, v27, v[26:27]
	v_mov_b32_e32 v25, v26
	v_lshl_add_u64 v[24:25], v[24:25], 4, v[56:57]
	v_and_or_b32 v28, v51, s2, v127
	global_store_dwordx4 v[24:25], v[102:105], off
	v_mad_u64_u32 v[24:25], s[0:1], s12, v28, 0
	v_mov_b32_e32 v26, v25
	v_mad_u64_u32 v[26:27], s[0:1], s13, v28, v[26:27]
	v_mov_b32_e32 v25, v26
	v_lshl_add_u64 v[24:25], v[24:25], 4, v[56:57]
	v_or_b32_e32 v27, 32, v28
	global_store_dwordx4 v[24:25], v[108:111], off
	v_mad_u64_u32 v[24:25], s[0:1], s12, v27, 0
	v_mov_b32_e32 v26, v25
	v_mad_u64_u32 v[26:27], s[0:1], s13, v27, v[26:27]
	v_mov_b32_e32 v25, v26
	v_lshl_add_u64 v[24:25], v[24:25], 4, v[56:57]
	v_and_or_b32 v28, v50, s2, v126
	global_store_dwordx4 v[24:25], v[80:83], off
	;; [unrolled: 14-line block ×4, first 2 shown]
	v_mad_u64_u32 v[24:25], s[0:1], s12, v28, 0
	v_mov_b32_e32 v26, v25
	v_mad_u64_u32 v[26:27], s[0:1], s13, v28, v[26:27]
	v_mov_b32_e32 v25, v26
	v_lshl_add_u64 v[24:25], v[24:25], 4, v[56:57]
	global_store_dwordx4 v[24:25], v[20:23], off
	s_nop 1
	v_or_b32_e32 v23, 32, v28
	v_mad_u64_u32 v[20:21], s[0:1], s12, v23, 0
	v_mov_b32_e32 v22, v21
	v_mad_u64_u32 v[22:23], s[0:1], s13, v23, v[22:23]
	v_mov_b32_e32 v21, v22
	v_lshl_add_u64 v[20:21], v[20:21], 4, v[56:57]
	global_store_dwordx4 v[20:21], v[16:19], off
	v_and_or_b32 v20, v46, s2, v54
	s_nop 0
	v_mad_u64_u32 v[16:17], s[0:1], s12, v20, 0
	v_mov_b32_e32 v18, v17
	v_mad_u64_u32 v[18:19], s[0:1], s13, v20, v[18:19]
	v_mov_b32_e32 v17, v18
	v_lshl_add_u64 v[16:17], v[16:17], 4, v[56:57]
	global_store_dwordx4 v[16:17], v[12:15], off
	s_nop 1
	v_or_b32_e32 v15, 32, v20
	v_mad_u64_u32 v[12:13], s[0:1], s12, v15, 0
	v_mov_b32_e32 v14, v13
	v_mad_u64_u32 v[14:15], s[0:1], s13, v15, v[14:15]
	v_mov_b32_e32 v13, v14
	v_lshl_add_u64 v[12:13], v[12:13], 4, v[56:57]
	global_store_dwordx4 v[12:13], v[8:11], off
	v_and_or_b32 v12, v45, s2, v52
	s_nop 0
	v_mad_u64_u32 v[8:9], s[0:1], s12, v12, 0
	v_mov_b32_e32 v10, v9
	v_mad_u64_u32 v[10:11], s[0:1], s13, v12, v[10:11]
	v_mov_b32_e32 v9, v10
	v_lshl_add_u64 v[8:9], v[8:9], 4, v[56:57]
	global_store_dwordx4 v[8:9], v[4:7], off
	s_nop 1
	v_or_b32_e32 v7, 32, v12
	v_mad_u64_u32 v[4:5], s[0:1], s12, v7, 0
	v_mov_b32_e32 v6, v5
	v_mad_u64_u32 v[6:7], s[0:1], s13, v7, v[6:7]
	v_mov_b32_e32 v5, v6
	v_lshl_add_u64 v[4:5], v[4:5], 4, v[56:57]
	global_store_dwordx4 v[4:5], v[0:3], off
.LBB0_12:
	s_endpgm
	.section	.rodata,"a",@progbits
	.p2align	6, 0x0
	.amdhsa_kernel fft_rtc_fwd_len64_factors_8_2_2_2_wgs_64_tpt_4_dim2_dp_op_CI_CI_sbcc_twdbase8_3step_dirReg
		.amdhsa_group_segment_fixed_size 0
		.amdhsa_private_segment_fixed_size 0
		.amdhsa_kernarg_size 104
		.amdhsa_user_sgpr_count 2
		.amdhsa_user_sgpr_dispatch_ptr 0
		.amdhsa_user_sgpr_queue_ptr 0
		.amdhsa_user_sgpr_kernarg_segment_ptr 1
		.amdhsa_user_sgpr_dispatch_id 0
		.amdhsa_user_sgpr_kernarg_preload_length 0
		.amdhsa_user_sgpr_kernarg_preload_offset 0
		.amdhsa_user_sgpr_private_segment_size 0
		.amdhsa_uses_dynamic_stack 0
		.amdhsa_enable_private_segment 0
		.amdhsa_system_sgpr_workgroup_id_x 1
		.amdhsa_system_sgpr_workgroup_id_y 0
		.amdhsa_system_sgpr_workgroup_id_z 0
		.amdhsa_system_sgpr_workgroup_info 0
		.amdhsa_system_vgpr_workitem_id 0
		.amdhsa_next_free_vgpr 138
		.amdhsa_next_free_sgpr 30
		.amdhsa_accum_offset 140
		.amdhsa_reserve_vcc 1
		.amdhsa_float_round_mode_32 0
		.amdhsa_float_round_mode_16_64 0
		.amdhsa_float_denorm_mode_32 3
		.amdhsa_float_denorm_mode_16_64 3
		.amdhsa_dx10_clamp 1
		.amdhsa_ieee_mode 1
		.amdhsa_fp16_overflow 0
		.amdhsa_tg_split 0
		.amdhsa_exception_fp_ieee_invalid_op 0
		.amdhsa_exception_fp_denorm_src 0
		.amdhsa_exception_fp_ieee_div_zero 0
		.amdhsa_exception_fp_ieee_overflow 0
		.amdhsa_exception_fp_ieee_underflow 0
		.amdhsa_exception_fp_ieee_inexact 0
		.amdhsa_exception_int_div_zero 0
	.end_amdhsa_kernel
	.text
.Lfunc_end0:
	.size	fft_rtc_fwd_len64_factors_8_2_2_2_wgs_64_tpt_4_dim2_dp_op_CI_CI_sbcc_twdbase8_3step_dirReg, .Lfunc_end0-fft_rtc_fwd_len64_factors_8_2_2_2_wgs_64_tpt_4_dim2_dp_op_CI_CI_sbcc_twdbase8_3step_dirReg
                                        ; -- End function
	.section	.AMDGPU.csdata,"",@progbits
; Kernel info:
; codeLenInByte = 9416
; NumSgprs: 36
; NumVgprs: 138
; NumAgprs: 0
; TotalNumVgprs: 138
; ScratchSize: 0
; MemoryBound: 1
; FloatMode: 240
; IeeeMode: 1
; LDSByteSize: 0 bytes/workgroup (compile time only)
; SGPRBlocks: 4
; VGPRBlocks: 17
; NumSGPRsForWavesPerEU: 36
; NumVGPRsForWavesPerEU: 138
; AccumOffset: 140
; Occupancy: 3
; WaveLimiterHint : 1
; COMPUTE_PGM_RSRC2:SCRATCH_EN: 0
; COMPUTE_PGM_RSRC2:USER_SGPR: 2
; COMPUTE_PGM_RSRC2:TRAP_HANDLER: 0
; COMPUTE_PGM_RSRC2:TGID_X_EN: 1
; COMPUTE_PGM_RSRC2:TGID_Y_EN: 0
; COMPUTE_PGM_RSRC2:TGID_Z_EN: 0
; COMPUTE_PGM_RSRC2:TIDIG_COMP_CNT: 0
; COMPUTE_PGM_RSRC3_GFX90A:ACCUM_OFFSET: 34
; COMPUTE_PGM_RSRC3_GFX90A:TG_SPLIT: 0
	.text
	.p2alignl 6, 3212836864
	.fill 256, 4, 3212836864
	.type	__hip_cuid_d43e79514f2f7c0d,@object ; @__hip_cuid_d43e79514f2f7c0d
	.section	.bss,"aw",@nobits
	.globl	__hip_cuid_d43e79514f2f7c0d
__hip_cuid_d43e79514f2f7c0d:
	.byte	0                               ; 0x0
	.size	__hip_cuid_d43e79514f2f7c0d, 1

	.ident	"AMD clang version 19.0.0git (https://github.com/RadeonOpenCompute/llvm-project roc-6.4.0 25133 c7fe45cf4b819c5991fe208aaa96edf142730f1d)"
	.section	".note.GNU-stack","",@progbits
	.addrsig
	.addrsig_sym __hip_cuid_d43e79514f2f7c0d
	.amdgpu_metadata
---
amdhsa.kernels:
  - .agpr_count:     0
    .args:
      - .actual_access:  read_only
        .address_space:  global
        .offset:         0
        .size:           8
        .value_kind:     global_buffer
      - .address_space:  global
        .offset:         8
        .size:           8
        .value_kind:     global_buffer
      - .actual_access:  read_only
        .address_space:  global
        .offset:         16
        .size:           8
        .value_kind:     global_buffer
      - .actual_access:  read_only
        .address_space:  global
        .offset:         24
        .size:           8
        .value_kind:     global_buffer
      - .actual_access:  read_only
        .address_space:  global
        .offset:         32
        .size:           8
        .value_kind:     global_buffer
      - .offset:         40
        .size:           8
        .value_kind:     by_value
      - .actual_access:  read_only
        .address_space:  global
        .offset:         48
        .size:           8
        .value_kind:     global_buffer
      - .actual_access:  read_only
        .address_space:  global
        .offset:         56
        .size:           8
        .value_kind:     global_buffer
      - .offset:         64
        .size:           4
        .value_kind:     by_value
      - .actual_access:  read_only
        .address_space:  global
        .offset:         72
        .size:           8
        .value_kind:     global_buffer
      - .actual_access:  read_only
        .address_space:  global
        .offset:         80
        .size:           8
        .value_kind:     global_buffer
      - .actual_access:  read_only
        .address_space:  global
        .offset:         88
        .size:           8
        .value_kind:     global_buffer
      - .actual_access:  write_only
        .address_space:  global
        .offset:         96
        .size:           8
        .value_kind:     global_buffer
    .group_segment_fixed_size: 0
    .kernarg_segment_align: 8
    .kernarg_segment_size: 104
    .language:       OpenCL C
    .language_version:
      - 2
      - 0
    .max_flat_workgroup_size: 64
    .name:           fft_rtc_fwd_len64_factors_8_2_2_2_wgs_64_tpt_4_dim2_dp_op_CI_CI_sbcc_twdbase8_3step_dirReg
    .private_segment_fixed_size: 0
    .sgpr_count:     36
    .sgpr_spill_count: 0
    .symbol:         fft_rtc_fwd_len64_factors_8_2_2_2_wgs_64_tpt_4_dim2_dp_op_CI_CI_sbcc_twdbase8_3step_dirReg.kd
    .uniform_work_group_size: 1
    .uses_dynamic_stack: false
    .vgpr_count:     138
    .vgpr_spill_count: 0
    .wavefront_size: 64
amdhsa.target:   amdgcn-amd-amdhsa--gfx950
amdhsa.version:
  - 1
  - 2
...

	.end_amdgpu_metadata
